;; amdgpu-corpus repo=zjin-lcf/HeCBench kind=compiled arch=gfx1250 opt=O3
	.amdgcn_target "amdgcn-amd-amdhsa--gfx1250"
	.amdhsa_code_object_version 6
	.text
	.protected	_Z11ccsd_kernelPKdS0_S0_S0_S0_S0_S0_S0_S0_S0_S0_S0_S0_S0_S0_dPdS1_S1_S1_iii ; -- Begin function _Z11ccsd_kernelPKdS0_S0_S0_S0_S0_S0_S0_S0_S0_S0_S0_S0_S0_S0_dPdS1_S1_S1_iii
	.globl	_Z11ccsd_kernelPKdS0_S0_S0_S0_S0_S0_S0_S0_S0_S0_S0_S0_S0_S0_dPdS1_S1_S1_iii
	.p2align	8
	.type	_Z11ccsd_kernelPKdS0_S0_S0_S0_S0_S0_S0_S0_S0_S0_S0_S0_S0_S0_dPdS1_S1_S1_iii,@function
_Z11ccsd_kernelPKdS0_S0_S0_S0_S0_S0_S0_S0_S0_S0_S0_S0_S0_S0_dPdS1_S1_S1_iii: ; @_Z11ccsd_kernelPKdS0_S0_S0_S0_S0_S0_S0_S0_S0_S0_S0_S0_S0_S0_dPdS1_S1_S1_iii
; %bb.0:
	s_clause 0x1
	s_load_b32 s2, s[0:1], 0xbc
	s_load_b96 s[28:30], s[0:1], 0xa0
	s_bfe_u32 s4, ttmp6, 0x4000c
	s_bfe_u32 s5, ttmp6, 0x40010
	s_add_co_i32 s4, s4, 1
	s_add_co_i32 s5, s5, 1
	s_and_b32 s3, ttmp6, 15
	s_bfe_u32 s6, ttmp6, 0x40004
	s_mul_i32 s4, ttmp9, s4
	s_mul_i32 s5, ttmp7, s5
	s_getreg_b32 s7, hwreg(HW_REG_IB_STS2, 6, 4)
	v_and_b32_e32 v34, 0x3ff, v0
	v_bfe_u32 v35, v0, 10, 10
	s_add_co_i32 s3, s3, s4
	s_add_co_i32 s6, s6, s5
	v_mov_b64_e32 v[6:7], 0
	v_mov_b64_e32 v[2:3], 0
	;; [unrolled: 1-line block ×4, first 2 shown]
	s_wait_kmcnt 0x0
	s_lshr_b32 s4, s2, 16
	s_and_b32 s2, s2, 0xffff
	s_cmp_eq_u32 s7, 0
	s_cselect_b32 s3, ttmp9, s3
	s_cselect_b32 s5, ttmp7, s6
	v_mad_u32 v37, s3, s2, v34
	v_mad_u32 v36, s5, s4, v35
	s_mov_b32 s3, exec_lo
	s_delay_alu instid0(VALU_DEP_1) | instskip(NEXT) | instid1(VALU_DEP_1)
	v_max_i32_e32 v8, v37, v36
	v_cmpx_gt_i32_e64 s30, v8
	s_cbranch_execz .LBB0_2
; %bb.1:
	s_clause 0x3
	s_load_b256 s[12:19], s[0:1], 0x60
	s_load_b256 s[4:11], s[0:1], 0x40
	;; [unrolled: 1-line block ×4, first 2 shown]
	s_add_co_i32 s28, s29, s28
	s_delay_alu instid0(SALU_CYCLE_1)
	v_dual_add_nc_u32 v0, s28, v37 :: v_dual_add_nc_u32 v2, s28, v36
	s_wait_kmcnt 0x0
	s_clause 0x1
	global_load_b64 v[0:1], v0, s[16:17] scale_offset
	global_load_b64 v[2:3], v2, s[16:17] scale_offset
	s_wait_loadcnt 0x0
	v_add_f64_e32 v[0:1], v[0:1], v[2:3]
	s_delay_alu instid0(VALU_DEP_1) | instskip(NEXT) | instid1(VALU_DEP_1)
	v_add_f64_e32 v[0:1], s[18:19], v[0:1]
	v_div_scale_f64 v[2:3], null, v[0:1], v[0:1], -1.0
	s_delay_alu instid0(VALU_DEP_1) | instskip(SKIP_1) | instid1(TRANS32_DEP_1)
	v_rcp_f64_e32 v[4:5], v[2:3]
	v_nop
	v_fma_f64 v[6:7], -v[2:3], v[4:5], 1.0
	s_delay_alu instid0(VALU_DEP_1) | instskip(NEXT) | instid1(VALU_DEP_1)
	v_fmac_f64_e32 v[4:5], v[4:5], v[6:7]
	v_fma_f64 v[6:7], -v[2:3], v[4:5], 1.0
	s_delay_alu instid0(VALU_DEP_1) | instskip(SKIP_1) | instid1(VALU_DEP_1)
	v_fmac_f64_e32 v[4:5], v[4:5], v[6:7]
	v_div_scale_f64 v[6:7], vcc_lo, -1.0, v[0:1], -1.0
	v_mul_f64_e32 v[8:9], v[6:7], v[4:5]
	s_delay_alu instid0(VALU_DEP_1) | instskip(NEXT) | instid1(VALU_DEP_1)
	v_fma_f64 v[2:3], -v[2:3], v[8:9], v[6:7]
	v_div_fmas_f64 v[2:3], v[2:3], v[4:5], v[8:9]
	s_delay_alu instid0(VALU_DEP_1)
	v_div_fixup_f64 v[16:17], v[2:3], v[0:1], -1.0
	v_mad_u32 v0, v36, s30, v37
	v_mad_u32 v1, v37, s30, v36
	s_clause 0x1
	global_load_b64 v[22:23], v0, s[36:37] scale_offset
	global_load_b64 v[14:15], v0, s[38:39] scale_offset
	s_clause 0x1
	global_load_b64 v[12:13], v1, s[36:37] scale_offset
	global_load_b64 v[20:21], v1, s[38:39] scale_offset
	;; [unrolled: 3-line block ×7, first 2 shown]
	s_clause 0x1
	global_load_b64 v[40:41], v1, s[24:25] scale_offset
	; meta instruction
	; meta instruction
	;; [unrolled: 1-line block ×3, first 2 shown]
	global_load_b64 v[30:31], v1, s[26:27] scale_offset
	s_wait_loadcnt 0xd
	s_wait_xcnt 0x0
	v_add_f64_e32 v[0:1], v[14:15], v[12:13]
	s_wait_loadcnt 0xc
	v_add_f64_e32 v[44:45], v[22:23], v[20:21]
	s_wait_loadcnt 0xa
	v_fma_f64 v[48:49], v[14:15], 2.0, -v[8:9]
	v_fma_f64 v[42:43], -2.0, v[8:9], v[14:15]
	s_wait_loadcnt 0x8
	s_delay_alu instid0(VALU_DEP_4) | instskip(NEXT) | instid1(VALU_DEP_4)
	v_add_f64_e32 v[0:1], v[0:1], v[26:27]
	v_add_f64_e32 v[44:45], v[44:45], v[6:7]
	s_wait_loadcnt 0x6
	s_delay_alu instid0(VALU_DEP_4) | instskip(NEXT) | instid1(VALU_DEP_4)
	v_add_f64_e64 v[48:49], v[48:49], -v[10:11]
	v_fmac_f64_e32 v[42:43], -2.0, v[10:11]
	s_delay_alu instid0(VALU_DEP_4) | instskip(SKIP_1) | instid1(VALU_DEP_4)
	v_add_f64_e32 v[4:5], v[0:1], v[2:3]
	s_wait_loadcnt 0x5
	v_add_f64_e32 v[46:47], v[44:45], v[38:39]
	v_add_f64_e32 v[44:45], v[44:45], v[10:11]
	s_wait_loadcnt 0x2
	v_fmac_f64_e32 v[48:49], 2.0, v[18:19]
	v_add_f64_e32 v[42:43], v[42:43], v[18:19]
	v_add_f64_e32 v[0:1], v[0:1], v[28:29]
	s_wait_loadcnt 0x1
	v_add_f64_e32 v[4:5], v[4:5], v[40:41]
	v_mul_f64_e32 v[46:47], v[16:17], v[46:47]
	s_wait_loadcnt 0x0
	v_add_f64_e32 v[44:45], v[44:45], v[30:31]
	s_delay_alu instid0(VALU_DEP_4) | instskip(NEXT) | instid1(VALU_DEP_4)
	v_mul_f64_e32 v[0:1], v[16:17], v[0:1]
	v_mul_f64_e32 v[4:5], v[16:17], v[4:5]
	s_delay_alu instid0(VALU_DEP_4) | instskip(SKIP_2) | instid1(VALU_DEP_3)
	v_mul_f64_e32 v[46:47], v[46:47], v[48:49]
	v_fma_f64 v[48:49], v[22:23], 2.0, -v[24:25]
	v_mul_f64_e32 v[44:45], v[16:17], v[44:45]
	v_fma_f64 v[4:5], v[42:43], v[4:5], -v[46:47]
	v_add_f64_e32 v[46:47], v[22:23], v[38:39]
	v_mul_f64_e32 v[42:43], 0x40080000, v[16:17]
	v_add_f64_e64 v[48:49], v[48:49], -v[2:3]
	s_delay_alu instid0(VALU_DEP_3) | instskip(NEXT) | instid1(VALU_DEP_2)
	v_fmac_f64_e32 v[46:47], 2.0, v[30:31]
	v_fmac_f64_e32 v[48:49], 2.0, v[32:33]
	s_delay_alu instid0(VALU_DEP_2) | instskip(NEXT) | instid1(VALU_DEP_2)
	v_mul_f64_e32 v[46:47], v[22:23], v[46:47]
	v_mul_f64_e32 v[0:1], v[0:1], v[48:49]
	s_delay_alu instid0(VALU_DEP_2) | instskip(NEXT) | instid1(VALU_DEP_1)
	v_fmac_f64_e32 v[46:47], v[24:25], v[26:27]
	v_fmac_f64_e32 v[46:47], v[2:3], v[18:19]
	s_delay_alu instid0(VALU_DEP_1) | instskip(SKIP_1) | instid1(VALU_DEP_1)
	v_fmac_f64_e32 v[4:5], v[42:43], v[46:47]
	v_fma_f64 v[46:47], -2.0, v[24:25], v[22:23]
	v_fmac_f64_e32 v[46:47], -2.0, v[2:3]
	s_delay_alu instid0(VALU_DEP_1) | instskip(NEXT) | instid1(VALU_DEP_1)
	v_add_f64_e32 v[46:47], v[46:47], v[32:33]
	v_fma_f64 v[0:1], v[46:47], v[44:45], -v[0:1]
	v_add_f64_e32 v[44:45], v[14:15], v[28:29]
	s_delay_alu instid0(VALU_DEP_1) | instskip(NEXT) | instid1(VALU_DEP_1)
	v_fmac_f64_e32 v[44:45], 2.0, v[40:41]
	v_mul_f64_e32 v[44:45], v[14:15], v[44:45]
	s_delay_alu instid0(VALU_DEP_1) | instskip(NEXT) | instid1(VALU_DEP_1)
	v_fmac_f64_e32 v[44:45], v[8:9], v[6:7]
	v_fmac_f64_e32 v[44:45], v[10:11], v[32:33]
	s_delay_alu instid0(VALU_DEP_1)
	v_fmac_f64_e32 v[0:1], v[42:43], v[44:45]
	s_clause 0x1
	global_load_b64 v[42:43], v37, s[8:9] scale_offset
	global_load_b64 v[44:45], v37, s[14:15] scale_offset
	s_clause 0x3
	global_load_b64 v[46:47], v36, s[6:7] scale_offset
	global_load_b64 v[48:49], v36, s[12:13] scale_offset
	;; [unrolled: 1-line block ×4, first 2 shown]
	s_wait_loadcnt 0x5
	s_wait_xcnt 0x0
	v_mul_f64_e32 v[36:37], v[16:17], v[42:43]
	s_wait_loadcnt 0x4
	v_mul_f64_e32 v[16:17], v[16:17], v[44:45]
	s_wait_loadcnt 0x3
	s_delay_alu instid0(VALU_DEP_2) | instskip(SKIP_3) | instid1(VALU_DEP_2)
	v_mul_f64_e32 v[42:43], v[36:37], v[46:47]
	v_add_f64_e32 v[46:47], v[14:15], v[24:25]
	s_wait_loadcnt 0x1
	v_mul_f64_e32 v[36:37], v[36:37], v[50:51]
	v_add_f64_e32 v[40:41], v[46:47], v[40:41]
	v_add_f64_e32 v[46:47], v[10:11], v[32:33]
	;; [unrolled: 1-line block ×3, first 2 shown]
	s_delay_alu instid0(VALU_DEP_2) | instskip(NEXT) | instid1(VALU_DEP_2)
	v_add_f64_e32 v[54:55], v[6:7], v[46:47]
	v_add_f64_e32 v[32:33], v[20:21], v[32:33]
	;; [unrolled: 1-line block ×3, first 2 shown]
	s_delay_alu instid0(VALU_DEP_3) | instskip(SKIP_1) | instid1(VALU_DEP_2)
	v_add_f64_e32 v[54:55], v[22:23], v[54:55]
	v_add_f64_e32 v[22:23], v[22:23], v[8:9]
	;; [unrolled: 1-line block ×4, first 2 shown]
	s_delay_alu instid0(VALU_DEP_3) | instskip(NEXT) | instid1(VALU_DEP_3)
	v_add_f64_e32 v[22:23], v[22:23], v[30:31]
	v_add_f64_e32 v[38:39], v[38:39], v[54:55]
	s_delay_alu instid0(VALU_DEP_3) | instskip(NEXT) | instid1(VALU_DEP_2)
	v_add_f64_e32 v[6:7], v[6:7], v[8:9]
	v_fmac_f64_e32 v[40:41], -2.0, v[38:39]
	v_add_f64_e32 v[38:39], v[2:3], v[18:19]
	v_add_f64_e32 v[2:3], v[24:25], v[2:3]
	s_delay_alu instid0(VALU_DEP_2) | instskip(NEXT) | instid1(VALU_DEP_2)
	v_add_f64_e32 v[54:55], v[12:13], v[38:39]
	v_add_f64_e32 v[2:3], v[26:27], v[2:3]
	;; [unrolled: 1-line block ×3, first 2 shown]
	s_delay_alu instid0(VALU_DEP_3) | instskip(NEXT) | instid1(VALU_DEP_3)
	v_fmac_f64_e32 v[40:41], 4.0, v[54:55]
	v_fmac_f64_e32 v[32:33], -2.0, v[2:3]
	s_delay_alu instid0(VALU_DEP_3) | instskip(SKIP_1) | instid1(VALU_DEP_3)
	v_add_f64_e32 v[26:27], v[14:15], v[26:27]
	v_add_f64_e32 v[14:15], v[14:15], v[18:19]
	v_mul_f64_e32 v[2:3], v[32:33], v[36:37]
	s_delay_alu instid0(VALU_DEP_3) | instskip(NEXT) | instid1(VALU_DEP_3)
	v_add_f64_e32 v[24:25], v[24:25], v[26:27]
	v_add_f64_e32 v[12:13], v[12:13], v[14:15]
	v_mul_f64_e32 v[32:33], v[16:17], v[48:49]
	s_wait_loadcnt 0x0
	v_mul_f64_e32 v[16:17], v[16:17], v[52:53]
	v_fmac_f64_e32 v[2:3], v[42:43], v[40:41]
	v_add_f64_e32 v[24:25], v[28:29], v[24:25]
	v_fmac_f64_e32 v[12:13], -2.0, v[6:7]
	s_delay_alu instid0(VALU_DEP_2) | instskip(NEXT) | instid1(VALU_DEP_2)
	v_fmac_f64_e32 v[22:23], -2.0, v[24:25]
	v_mul_f64_e32 v[6:7], v[12:13], v[16:17]
	s_delay_alu instid0(VALU_DEP_2) | instskip(NEXT) | instid1(VALU_DEP_1)
	v_fmac_f64_e32 v[22:23], 4.0, v[20:21]
	v_fmac_f64_e32 v[6:7], v[32:33], v[22:23]
.LBB0_2:
	s_or_b32 exec_lo, exec_lo, s3
	v_mov_b32_dpp v8, v4 quad_perm:[1,0,3,2] row_mask:0xf bank_mask:0xf
	v_mov_b32_dpp v9, v5 quad_perm:[1,0,3,2] row_mask:0xf bank_mask:0xf
	s_delay_alu instid0(VALU_DEP_1) | instskip(NEXT) | instid1(VALU_DEP_1)
	v_add_f64_e32 v[4:5], v[4:5], v[8:9]
	v_mov_b32_dpp v8, v4 quad_perm:[2,3,0,1] row_mask:0xf bank_mask:0xf
	s_delay_alu instid0(VALU_DEP_2) | instskip(NEXT) | instid1(VALU_DEP_1)
	v_mov_b32_dpp v9, v5 quad_perm:[2,3,0,1] row_mask:0xf bank_mask:0xf
	v_add_f64_e32 v[4:5], v[4:5], v[8:9]
	s_delay_alu instid0(VALU_DEP_1) | instskip(NEXT) | instid1(VALU_DEP_2)
	v_mov_b32_dpp v8, v4 row_ror:4 row_mask:0xf bank_mask:0xf
	v_mov_b32_dpp v9, v5 row_ror:4 row_mask:0xf bank_mask:0xf
	s_delay_alu instid0(VALU_DEP_1) | instskip(NEXT) | instid1(VALU_DEP_1)
	v_add_f64_e32 v[4:5], v[4:5], v[8:9]
	v_mov_b32_dpp v8, v4 row_ror:8 row_mask:0xf bank_mask:0xf
	s_delay_alu instid0(VALU_DEP_2) | instskip(NEXT) | instid1(VALU_DEP_1)
	v_mov_b32_dpp v9, v5 row_ror:8 row_mask:0xf bank_mask:0xf
	v_add_f64_e32 v[4:5], v[4:5], v[8:9]
	ds_swizzle_b32 v8, v4 offset:swizzle(BROADCAST,32,15)
	ds_swizzle_b32 v9, v5 offset:swizzle(BROADCAST,32,15)
	s_wait_dscnt 0x0
	v_dual_add_f64 v[4:5], v[4:5], v[8:9] :: v_dual_mov_b32 v8, 0
	v_mad_u32_u24 v9, v35, s2, v34
	s_delay_alu instid0(VALU_DEP_1) | instskip(SKIP_3) | instid1(VALU_DEP_1)
	v_lshrrev_b32_e32 v11, 2, v9
	ds_bpermute_b32 v4, v8, v4 offset:124
	ds_bpermute_b32 v5, v8, v5 offset:124
	v_mbcnt_lo_u32_b32 v8, -1, 0
	v_cmp_eq_u32_e32 vcc_lo, 0, v8
	s_and_saveexec_b32 s2, vcc_lo
	s_cbranch_execz .LBB0_4
; %bb.3:
	v_and_b32_e32 v10, 0x1fffff8, v11
	s_wait_dscnt 0x0
	ds_store_b64 v10, v[4:5]
.LBB0_4:
	s_or_b32 exec_lo, exec_lo, s2
	v_dual_mov_b32 v12, 0x7c :: v_dual_lshlrev_b32 v13, 2, v8
	v_cmp_gt_u32_e64 s2, 32, v9
	v_and_b32_e32 v10, 7, v8
	s_wait_dscnt 0x0
	s_delay_alu instid0(VALU_DEP_3)
	v_or_b32_e32 v9, 16, v13
	s_barrier_signal -1
	s_barrier_wait -1
	s_and_saveexec_b32 s4, s2
	s_cbranch_execz .LBB0_6
; %bb.5:
	v_cmp_ne_u32_e64 s3, 7, v10
	s_delay_alu instid0(VALU_DEP_1) | instskip(SKIP_2) | instid1(VALU_DEP_3)
	v_add_co_ci_u32_e64 v13, null, 0, v8, s3
	v_lshlrev_b32_e32 v4, 3, v10
	v_cmp_gt_u32_e64 s3, 6, v10
	v_lshlrev_b32_e32 v13, 2, v13
	ds_load_b64 v[4:5], v4
	s_wait_dscnt 0x0
	ds_bpermute_b32 v14, v13, v4
	ds_bpermute_b32 v15, v13, v5
	v_cndmask_b32_e64 v13, 0, 2, s3
	s_delay_alu instid0(VALU_DEP_1)
	v_add_lshl_u32 v13, v13, v8, 2
	s_wait_dscnt 0x0
	v_add_f64_e32 v[4:5], v[4:5], v[14:15]
	ds_bpermute_b32 v14, v13, v4
	ds_bpermute_b32 v15, v13, v5
	s_wait_dscnt 0x0
	v_add_f64_e32 v[4:5], v[4:5], v[14:15]
	ds_bpermute_b32 v14, v9, v4
	ds_bpermute_b32 v15, v9, v5
	s_wait_dscnt 0x0
	v_add_f64_e32 v[4:5], v[4:5], v[14:15]
.LBB0_6:
	s_or_b32 exec_lo, exec_lo, s4
	v_mov_b32_dpp v14, v0 quad_perm:[1,0,3,2] row_mask:0xf bank_mask:0xf
	v_mov_b32_dpp v15, v1 quad_perm:[1,0,3,2] row_mask:0xf bank_mask:0xf
	s_delay_alu instid0(VALU_DEP_1) | instskip(NEXT) | instid1(VALU_DEP_1)
	v_add_f64_e32 v[0:1], v[0:1], v[14:15]
	v_mov_b32_dpp v14, v0 quad_perm:[2,3,0,1] row_mask:0xf bank_mask:0xf
	s_delay_alu instid0(VALU_DEP_2) | instskip(NEXT) | instid1(VALU_DEP_1)
	v_mov_b32_dpp v15, v1 quad_perm:[2,3,0,1] row_mask:0xf bank_mask:0xf
	v_add_f64_e32 v[0:1], v[0:1], v[14:15]
	s_delay_alu instid0(VALU_DEP_1) | instskip(NEXT) | instid1(VALU_DEP_2)
	v_mov_b32_dpp v14, v0 row_ror:4 row_mask:0xf bank_mask:0xf
	v_mov_b32_dpp v15, v1 row_ror:4 row_mask:0xf bank_mask:0xf
	s_delay_alu instid0(VALU_DEP_1) | instskip(NEXT) | instid1(VALU_DEP_1)
	v_add_f64_e32 v[0:1], v[0:1], v[14:15]
	v_mov_b32_dpp v14, v0 row_ror:8 row_mask:0xf bank_mask:0xf
	s_delay_alu instid0(VALU_DEP_2) | instskip(NEXT) | instid1(VALU_DEP_1)
	v_mov_b32_dpp v15, v1 row_ror:8 row_mask:0xf bank_mask:0xf
	v_add_f64_e32 v[0:1], v[0:1], v[14:15]
	ds_swizzle_b32 v14, v0 offset:swizzle(BROADCAST,32,15)
	ds_swizzle_b32 v15, v1 offset:swizzle(BROADCAST,32,15)
	s_wait_dscnt 0x0
	v_add_f64_e32 v[0:1], v[0:1], v[14:15]
	ds_bpermute_b32 v0, v12, v0
	ds_bpermute_b32 v1, v12, v1
	s_and_saveexec_b32 s3, vcc_lo
	s_cbranch_execz .LBB0_8
; %bb.7:
	v_and_b32_e32 v13, 0x1fffff8, v11
	s_wait_dscnt 0x0
	ds_store_b64 v13, v[0:1] offset:64
.LBB0_8:
	s_or_b32 exec_lo, exec_lo, s3
	s_wait_dscnt 0x0
	s_barrier_signal -1
	s_barrier_wait -1
	s_and_saveexec_b32 s4, s2
	s_cbranch_execz .LBB0_10
; %bb.9:
	v_cmp_ne_u32_e64 s3, 7, v10
	s_delay_alu instid0(VALU_DEP_1) | instskip(SKIP_2) | instid1(VALU_DEP_3)
	v_add_co_ci_u32_e64 v13, null, 0, v8, s3
	v_lshlrev_b32_e32 v0, 3, v10
	v_cmp_gt_u32_e64 s3, 6, v10
	v_lshlrev_b32_e32 v13, 2, v13
	ds_load_b64 v[0:1], v0 offset:64
	s_wait_dscnt 0x0
	ds_bpermute_b32 v14, v13, v0
	ds_bpermute_b32 v15, v13, v1
	v_cndmask_b32_e64 v13, 0, 2, s3
	s_delay_alu instid0(VALU_DEP_1)
	v_add_lshl_u32 v13, v13, v8, 2
	s_wait_dscnt 0x0
	v_add_f64_e32 v[0:1], v[0:1], v[14:15]
	ds_bpermute_b32 v14, v13, v0
	ds_bpermute_b32 v15, v13, v1
	s_wait_dscnt 0x0
	v_add_f64_e32 v[0:1], v[0:1], v[14:15]
	ds_bpermute_b32 v14, v9, v0
	ds_bpermute_b32 v15, v9, v1
	s_wait_dscnt 0x0
	v_add_f64_e32 v[0:1], v[0:1], v[14:15]
.LBB0_10:
	s_or_b32 exec_lo, exec_lo, s4
	v_mov_b32_dpp v14, v2 quad_perm:[1,0,3,2] row_mask:0xf bank_mask:0xf
	v_mov_b32_dpp v15, v3 quad_perm:[1,0,3,2] row_mask:0xf bank_mask:0xf
	s_delay_alu instid0(VALU_DEP_1) | instskip(NEXT) | instid1(VALU_DEP_1)
	v_add_f64_e32 v[2:3], v[2:3], v[14:15]
	v_mov_b32_dpp v14, v2 quad_perm:[2,3,0,1] row_mask:0xf bank_mask:0xf
	s_delay_alu instid0(VALU_DEP_2) | instskip(NEXT) | instid1(VALU_DEP_1)
	v_mov_b32_dpp v15, v3 quad_perm:[2,3,0,1] row_mask:0xf bank_mask:0xf
	v_add_f64_e32 v[2:3], v[2:3], v[14:15]
	s_delay_alu instid0(VALU_DEP_1) | instskip(NEXT) | instid1(VALU_DEP_2)
	v_mov_b32_dpp v14, v2 row_ror:4 row_mask:0xf bank_mask:0xf
	v_mov_b32_dpp v15, v3 row_ror:4 row_mask:0xf bank_mask:0xf
	s_delay_alu instid0(VALU_DEP_1) | instskip(NEXT) | instid1(VALU_DEP_1)
	v_add_f64_e32 v[2:3], v[2:3], v[14:15]
	v_mov_b32_dpp v14, v2 row_ror:8 row_mask:0xf bank_mask:0xf
	s_delay_alu instid0(VALU_DEP_2) | instskip(NEXT) | instid1(VALU_DEP_1)
	v_mov_b32_dpp v15, v3 row_ror:8 row_mask:0xf bank_mask:0xf
	v_add_f64_e32 v[2:3], v[2:3], v[14:15]
	ds_swizzle_b32 v14, v2 offset:swizzle(BROADCAST,32,15)
	ds_swizzle_b32 v15, v3 offset:swizzle(BROADCAST,32,15)
	s_wait_dscnt 0x0
	v_add_f64_e32 v[2:3], v[2:3], v[14:15]
	ds_bpermute_b32 v2, v12, v2
	ds_bpermute_b32 v3, v12, v3
	s_and_saveexec_b32 s3, vcc_lo
	s_cbranch_execz .LBB0_12
; %bb.11:
	v_and_b32_e32 v13, 0x1fffff8, v11
	s_wait_dscnt 0x0
	ds_store_b64 v13, v[2:3] offset:128
.LBB0_12:
	s_or_b32 exec_lo, exec_lo, s3
	s_wait_dscnt 0x0
	s_barrier_signal -1
	s_barrier_wait -1
	s_and_saveexec_b32 s4, s2
	s_cbranch_execz .LBB0_14
; %bb.13:
	v_cmp_ne_u32_e64 s3, 7, v10
	s_delay_alu instid0(VALU_DEP_1) | instskip(SKIP_2) | instid1(VALU_DEP_3)
	v_add_co_ci_u32_e64 v13, null, 0, v8, s3
	v_lshlrev_b32_e32 v2, 3, v10
	v_cmp_gt_u32_e64 s3, 6, v10
	v_lshlrev_b32_e32 v13, 2, v13
	ds_load_b64 v[2:3], v2 offset:128
	s_wait_dscnt 0x0
	ds_bpermute_b32 v14, v13, v2
	ds_bpermute_b32 v15, v13, v3
	v_cndmask_b32_e64 v13, 0, 2, s3
	s_delay_alu instid0(VALU_DEP_1)
	v_add_lshl_u32 v13, v13, v8, 2
	s_wait_dscnt 0x0
	v_add_f64_e32 v[2:3], v[2:3], v[14:15]
	ds_bpermute_b32 v14, v13, v2
	ds_bpermute_b32 v15, v13, v3
	s_wait_dscnt 0x0
	v_add_f64_e32 v[2:3], v[2:3], v[14:15]
	ds_bpermute_b32 v14, v9, v2
	ds_bpermute_b32 v15, v9, v3
	s_wait_dscnt 0x0
	v_add_f64_e32 v[2:3], v[2:3], v[14:15]
.LBB0_14:
	s_or_b32 exec_lo, exec_lo, s4
	v_mov_b32_dpp v14, v6 quad_perm:[1,0,3,2] row_mask:0xf bank_mask:0xf
	v_mov_b32_dpp v15, v7 quad_perm:[1,0,3,2] row_mask:0xf bank_mask:0xf
	s_delay_alu instid0(VALU_DEP_1) | instskip(NEXT) | instid1(VALU_DEP_1)
	v_add_f64_e32 v[6:7], v[6:7], v[14:15]
	v_mov_b32_dpp v14, v6 quad_perm:[2,3,0,1] row_mask:0xf bank_mask:0xf
	s_delay_alu instid0(VALU_DEP_2) | instskip(NEXT) | instid1(VALU_DEP_1)
	v_mov_b32_dpp v15, v7 quad_perm:[2,3,0,1] row_mask:0xf bank_mask:0xf
	v_add_f64_e32 v[6:7], v[6:7], v[14:15]
	s_delay_alu instid0(VALU_DEP_1) | instskip(NEXT) | instid1(VALU_DEP_2)
	v_mov_b32_dpp v14, v6 row_ror:4 row_mask:0xf bank_mask:0xf
	v_mov_b32_dpp v15, v7 row_ror:4 row_mask:0xf bank_mask:0xf
	s_delay_alu instid0(VALU_DEP_1) | instskip(NEXT) | instid1(VALU_DEP_1)
	v_add_f64_e32 v[6:7], v[6:7], v[14:15]
	v_mov_b32_dpp v14, v6 row_ror:8 row_mask:0xf bank_mask:0xf
	s_delay_alu instid0(VALU_DEP_2) | instskip(NEXT) | instid1(VALU_DEP_1)
	v_mov_b32_dpp v15, v7 row_ror:8 row_mask:0xf bank_mask:0xf
	v_add_f64_e32 v[6:7], v[6:7], v[14:15]
	ds_swizzle_b32 v14, v6 offset:swizzle(BROADCAST,32,15)
	ds_swizzle_b32 v15, v7 offset:swizzle(BROADCAST,32,15)
	s_wait_dscnt 0x0
	v_add_f64_e32 v[6:7], v[6:7], v[14:15]
	ds_bpermute_b32 v6, v12, v6
	ds_bpermute_b32 v7, v12, v7
	s_and_saveexec_b32 s3, vcc_lo
	s_cbranch_execz .LBB0_16
; %bb.15:
	v_and_b32_e32 v11, 0x1fffff8, v11
	s_wait_dscnt 0x0
	ds_store_b64 v11, v[6:7] offset:192
.LBB0_16:
	s_or_b32 exec_lo, exec_lo, s3
	s_wait_dscnt 0x0
	s_barrier_signal -1
	s_barrier_wait -1
	s_and_saveexec_b32 s3, s2
	s_cbranch_execz .LBB0_18
; %bb.17:
	v_lshl_or_b32 v6, v8, 3, 0xc0
	v_cmp_ne_u32_e32 vcc_lo, 7, v10
	ds_load_b64 v[6:7], v6
	v_add_co_ci_u32_e64 v11, null, 0, v8, vcc_lo
	v_cmp_gt_u32_e32 vcc_lo, 6, v10
	s_delay_alu instid0(VALU_DEP_2) | instskip(SKIP_1) | instid1(VALU_DEP_1)
	v_lshlrev_b32_e32 v11, 2, v11
	v_cndmask_b32_e64 v10, 0, 2, vcc_lo
	v_add_lshl_u32 v8, v10, v8, 2
	s_wait_dscnt 0x0
	ds_bpermute_b32 v12, v11, v6
	ds_bpermute_b32 v13, v11, v7
	s_wait_dscnt 0x0
	v_add_f64_e32 v[6:7], v[6:7], v[12:13]
	ds_bpermute_b32 v10, v8, v6
	ds_bpermute_b32 v11, v8, v7
	s_wait_dscnt 0x0
	v_add_f64_e32 v[6:7], v[6:7], v[10:11]
	;; [unrolled: 4-line block ×3, first 2 shown]
.LBB0_18:
	s_or_b32 exec_lo, exec_lo, s3
	v_or_b32_e32 v8, v34, v35
	s_mov_b32 s2, exec_lo
	s_delay_alu instid0(VALU_DEP_1)
	v_cmpx_eq_u32_e32 0, v8
	s_cbranch_execz .LBB0_35
; %bb.19:
	s_load_b256 s[4:11], s[0:1], 0x80
	v_mov_b64_e32 v[8:9], 0x8000000000000000
	s_mov_b32 s2, exec_lo
.LBB0_20:                               ; =>This Inner Loop Header: Depth=1
	s_delay_alu instid0(SALU_CYCLE_1) | instskip(SKIP_3) | instid1(VALU_DEP_1)
	s_ctz_i32_b32 s3, s2
	s_wait_xcnt 0x0
	v_readlane_b32 s1, v5, s3
	v_readlane_b32 s0, v4, s3
	v_add_f64_e32 v[8:9], s[0:1], v[8:9]
	s_lshl_b32 s0, 1, s3
	s_delay_alu instid0(SALU_CYCLE_1) | instskip(NEXT) | instid1(SALU_CYCLE_1)
	s_and_not1_b32 s2, s2, s0
	s_cmp_lg_u32 s2, 0
	s_cbranch_scc1 .LBB0_20
; %bb.21:
	v_mbcnt_lo_u32_b32 v4, exec_lo, 0
	s_mov_b32 s0, exec_lo
	s_delay_alu instid0(VALU_DEP_1)
	v_cmpx_eq_u32_e32 0, v4
	s_xor_b32 s0, exec_lo, s0
	s_cbranch_execz .LBB0_23
; %bb.22:
	v_mov_b32_e32 v4, 0
	s_wait_kmcnt 0x0
	global_atomic_add_f64 v4, v[8:9], s[4:5] scope:SCOPE_DEV
.LBB0_23:
	s_wait_xcnt 0x0
	s_or_b32 exec_lo, exec_lo, s0
	v_mov_b64_e32 v[4:5], 0x8000000000000000
	s_mov_b32 s0, exec_lo
.LBB0_24:                               ; =>This Inner Loop Header: Depth=1
	s_delay_alu instid0(SALU_CYCLE_1) | instskip(NEXT) | instid1(SALU_CYCLE_1)
	s_ctz_i32_b32 s1, s0
	v_readlane_b32 s3, v1, s1
	v_readlane_b32 s2, v0, s1
	s_lshl_b32 s1, 1, s1
	s_delay_alu instid0(SALU_CYCLE_1)
	s_and_not1_b32 s0, s0, s1
	v_add_f64_e32 v[4:5], s[2:3], v[4:5]
	s_cmp_lg_u32 s0, 0
	s_cbranch_scc1 .LBB0_24
; %bb.25:
	v_mbcnt_lo_u32_b32 v0, exec_lo, 0
	s_mov_b32 s0, exec_lo
	s_delay_alu instid0(VALU_DEP_1)
	v_cmpx_eq_u32_e32 0, v0
	s_xor_b32 s0, exec_lo, s0
	s_cbranch_execz .LBB0_27
; %bb.26:
	v_mov_b32_e32 v0, 0
	s_wait_kmcnt 0x0
	global_atomic_add_f64 v0, v[4:5], s[8:9] scope:SCOPE_DEV
.LBB0_27:
	s_wait_xcnt 0x0
	s_or_b32 exec_lo, exec_lo, s0
	v_mov_b64_e32 v[0:1], 0x8000000000000000
	s_mov_b32 s0, exec_lo
.LBB0_28:                               ; =>This Inner Loop Header: Depth=1
	s_delay_alu instid0(SALU_CYCLE_1) | instskip(NEXT) | instid1(SALU_CYCLE_1)
	s_ctz_i32_b32 s1, s0
	v_readlane_b32 s3, v3, s1
	v_readlane_b32 s2, v2, s1
	s_lshl_b32 s1, 1, s1
	s_delay_alu instid0(SALU_CYCLE_1)
	s_and_not1_b32 s0, s0, s1
	v_add_f64_e32 v[0:1], s[2:3], v[0:1]
	s_cmp_lg_u32 s0, 0
	s_cbranch_scc1 .LBB0_28
	;; [unrolled: 27-line block ×3, first 2 shown]
; %bb.33:
	v_mbcnt_lo_u32_b32 v2, exec_lo, 0
	s_mov_b32 s0, exec_lo
	s_delay_alu instid0(VALU_DEP_1)
	v_cmpx_eq_u32_e32 0, v2
	s_xor_b32 s0, exec_lo, s0
	s_cbranch_execz .LBB0_35
; %bb.34:
	v_mov_b32_e32 v2, 0
	s_wait_kmcnt 0x0
	global_atomic_add_f64 v2, v[0:1], s[10:11] scope:SCOPE_DEV
.LBB0_35:
	s_endpgm
	.section	.rodata,"a",@progbits
	.p2align	6, 0x0
	.amdhsa_kernel _Z11ccsd_kernelPKdS0_S0_S0_S0_S0_S0_S0_S0_S0_S0_S0_S0_S0_S0_dPdS1_S1_S1_iii
		.amdhsa_group_segment_fixed_size 256
		.amdhsa_private_segment_fixed_size 0
		.amdhsa_kernarg_size 432
		.amdhsa_user_sgpr_count 2
		.amdhsa_user_sgpr_dispatch_ptr 0
		.amdhsa_user_sgpr_queue_ptr 0
		.amdhsa_user_sgpr_kernarg_segment_ptr 1
		.amdhsa_user_sgpr_dispatch_id 0
		.amdhsa_user_sgpr_kernarg_preload_length 0
		.amdhsa_user_sgpr_kernarg_preload_offset 0
		.amdhsa_user_sgpr_private_segment_size 0
		.amdhsa_wavefront_size32 1
		.amdhsa_uses_dynamic_stack 0
		.amdhsa_enable_private_segment 0
		.amdhsa_system_sgpr_workgroup_id_x 1
		.amdhsa_system_sgpr_workgroup_id_y 1
		.amdhsa_system_sgpr_workgroup_id_z 0
		.amdhsa_system_sgpr_workgroup_info 0
		.amdhsa_system_vgpr_workitem_id 1
		.amdhsa_next_free_vgpr 56
		.amdhsa_next_free_sgpr 44
		.amdhsa_named_barrier_count 0
		.amdhsa_reserve_vcc 1
		.amdhsa_float_round_mode_32 0
		.amdhsa_float_round_mode_16_64 0
		.amdhsa_float_denorm_mode_32 3
		.amdhsa_float_denorm_mode_16_64 3
		.amdhsa_fp16_overflow 0
		.amdhsa_memory_ordered 1
		.amdhsa_forward_progress 1
		.amdhsa_inst_pref_size 25
		.amdhsa_round_robin_scheduling 0
		.amdhsa_exception_fp_ieee_invalid_op 0
		.amdhsa_exception_fp_denorm_src 0
		.amdhsa_exception_fp_ieee_div_zero 0
		.amdhsa_exception_fp_ieee_overflow 0
		.amdhsa_exception_fp_ieee_underflow 0
		.amdhsa_exception_fp_ieee_inexact 0
		.amdhsa_exception_int_div_zero 0
	.end_amdhsa_kernel
	.text
.Lfunc_end0:
	.size	_Z11ccsd_kernelPKdS0_S0_S0_S0_S0_S0_S0_S0_S0_S0_S0_S0_S0_S0_dPdS1_S1_S1_iii, .Lfunc_end0-_Z11ccsd_kernelPKdS0_S0_S0_S0_S0_S0_S0_S0_S0_S0_S0_S0_S0_S0_dPdS1_S1_S1_iii
                                        ; -- End function
	.set _Z11ccsd_kernelPKdS0_S0_S0_S0_S0_S0_S0_S0_S0_S0_S0_S0_S0_S0_dPdS1_S1_S1_iii.num_vgpr, 56
	.set _Z11ccsd_kernelPKdS0_S0_S0_S0_S0_S0_S0_S0_S0_S0_S0_S0_S0_S0_dPdS1_S1_S1_iii.num_agpr, 0
	.set _Z11ccsd_kernelPKdS0_S0_S0_S0_S0_S0_S0_S0_S0_S0_S0_S0_S0_S0_dPdS1_S1_S1_iii.numbered_sgpr, 44
	.set _Z11ccsd_kernelPKdS0_S0_S0_S0_S0_S0_S0_S0_S0_S0_S0_S0_S0_S0_dPdS1_S1_S1_iii.num_named_barrier, 0
	.set _Z11ccsd_kernelPKdS0_S0_S0_S0_S0_S0_S0_S0_S0_S0_S0_S0_S0_S0_dPdS1_S1_S1_iii.private_seg_size, 0
	.set _Z11ccsd_kernelPKdS0_S0_S0_S0_S0_S0_S0_S0_S0_S0_S0_S0_S0_S0_dPdS1_S1_S1_iii.uses_vcc, 1
	.set _Z11ccsd_kernelPKdS0_S0_S0_S0_S0_S0_S0_S0_S0_S0_S0_S0_S0_S0_dPdS1_S1_S1_iii.uses_flat_scratch, 0
	.set _Z11ccsd_kernelPKdS0_S0_S0_S0_S0_S0_S0_S0_S0_S0_S0_S0_S0_S0_dPdS1_S1_S1_iii.has_dyn_sized_stack, 0
	.set _Z11ccsd_kernelPKdS0_S0_S0_S0_S0_S0_S0_S0_S0_S0_S0_S0_S0_S0_dPdS1_S1_S1_iii.has_recursion, 0
	.set _Z11ccsd_kernelPKdS0_S0_S0_S0_S0_S0_S0_S0_S0_S0_S0_S0_S0_S0_dPdS1_S1_S1_iii.has_indirect_call, 0
	.section	.AMDGPU.csdata,"",@progbits
; Kernel info:
; codeLenInByte = 3144
; TotalNumSgprs: 46
; NumVgprs: 56
; ScratchSize: 0
; MemoryBound: 0
; FloatMode: 240
; IeeeMode: 1
; LDSByteSize: 256 bytes/workgroup (compile time only)
; SGPRBlocks: 0
; VGPRBlocks: 3
; NumSGPRsForWavesPerEU: 46
; NumVGPRsForWavesPerEU: 56
; NamedBarCnt: 0
; Occupancy: 16
; WaveLimiterHint : 0
; COMPUTE_PGM_RSRC2:SCRATCH_EN: 0
; COMPUTE_PGM_RSRC2:USER_SGPR: 2
; COMPUTE_PGM_RSRC2:TRAP_HANDLER: 0
; COMPUTE_PGM_RSRC2:TGID_X_EN: 1
; COMPUTE_PGM_RSRC2:TGID_Y_EN: 1
; COMPUTE_PGM_RSRC2:TGID_Z_EN: 0
; COMPUTE_PGM_RSRC2:TIDIG_COMP_CNT: 1
	.text
	.p2alignl 7, 3214868480
	.fill 96, 4, 3214868480
	.section	.AMDGPU.gpr_maximums,"",@progbits
	.set amdgpu.max_num_vgpr, 0
	.set amdgpu.max_num_agpr, 0
	.set amdgpu.max_num_sgpr, 0
	.text
	.type	__hip_cuid_46fcae2ff2f3a4a,@object ; @__hip_cuid_46fcae2ff2f3a4a
	.section	.bss,"aw",@nobits
	.globl	__hip_cuid_46fcae2ff2f3a4a
__hip_cuid_46fcae2ff2f3a4a:
	.byte	0                               ; 0x0
	.size	__hip_cuid_46fcae2ff2f3a4a, 1

	.ident	"AMD clang version 22.0.0git (https://github.com/RadeonOpenCompute/llvm-project roc-7.2.4 26084 f58b06dce1f9c15707c5f808fd002e18c2accf7e)"
	.section	".note.GNU-stack","",@progbits
	.addrsig
	.addrsig_sym __hip_cuid_46fcae2ff2f3a4a
	.amdgpu_metadata
---
amdhsa.kernels:
  - .args:
      - .actual_access:  read_only
        .address_space:  global
        .offset:         0
        .size:           8
        .value_kind:     global_buffer
      - .actual_access:  read_only
        .address_space:  global
        .offset:         8
        .size:           8
        .value_kind:     global_buffer
      - .actual_access:  read_only
        .address_space:  global
        .offset:         16
        .size:           8
        .value_kind:     global_buffer
      - .actual_access:  read_only
        .address_space:  global
        .offset:         24
        .size:           8
        .value_kind:     global_buffer
      - .actual_access:  read_only
        .address_space:  global
        .offset:         32
        .size:           8
        .value_kind:     global_buffer
      - .actual_access:  read_only
        .address_space:  global
        .offset:         40
        .size:           8
        .value_kind:     global_buffer
      - .actual_access:  read_only
        .address_space:  global
        .offset:         48
        .size:           8
        .value_kind:     global_buffer
      - .actual_access:  read_only
        .address_space:  global
        .offset:         56
        .size:           8
        .value_kind:     global_buffer
      - .actual_access:  read_only
        .address_space:  global
        .offset:         64
        .size:           8
        .value_kind:     global_buffer
      - .actual_access:  read_only
        .address_space:  global
        .offset:         72
        .size:           8
        .value_kind:     global_buffer
      - .actual_access:  read_only
        .address_space:  global
        .offset:         80
        .size:           8
        .value_kind:     global_buffer
      - .actual_access:  read_only
        .address_space:  global
        .offset:         88
        .size:           8
        .value_kind:     global_buffer
      - .actual_access:  read_only
        .address_space:  global
        .offset:         96
        .size:           8
        .value_kind:     global_buffer
      - .actual_access:  read_only
        .address_space:  global
        .offset:         104
        .size:           8
        .value_kind:     global_buffer
      - .actual_access:  read_only
        .address_space:  global
        .offset:         112
        .size:           8
        .value_kind:     global_buffer
      - .offset:         120
        .size:           8
        .value_kind:     by_value
      - .address_space:  global
        .offset:         128
        .size:           8
        .value_kind:     global_buffer
      - .address_space:  global
        .offset:         136
        .size:           8
        .value_kind:     global_buffer
      - .address_space:  global
        .offset:         144
        .size:           8
        .value_kind:     global_buffer
      - .address_space:  global
        .offset:         152
        .size:           8
        .value_kind:     global_buffer
      - .offset:         160
        .size:           4
        .value_kind:     by_value
      - .offset:         164
        .size:           4
        .value_kind:     by_value
      - .offset:         168
        .size:           4
        .value_kind:     by_value
      - .offset:         176
        .size:           4
        .value_kind:     hidden_block_count_x
      - .offset:         180
        .size:           4
        .value_kind:     hidden_block_count_y
      - .offset:         184
        .size:           4
        .value_kind:     hidden_block_count_z
      - .offset:         188
        .size:           2
        .value_kind:     hidden_group_size_x
      - .offset:         190
        .size:           2
        .value_kind:     hidden_group_size_y
      - .offset:         192
        .size:           2
        .value_kind:     hidden_group_size_z
      - .offset:         194
        .size:           2
        .value_kind:     hidden_remainder_x
      - .offset:         196
        .size:           2
        .value_kind:     hidden_remainder_y
      - .offset:         198
        .size:           2
        .value_kind:     hidden_remainder_z
      - .offset:         216
        .size:           8
        .value_kind:     hidden_global_offset_x
      - .offset:         224
        .size:           8
        .value_kind:     hidden_global_offset_y
      - .offset:         232
        .size:           8
        .value_kind:     hidden_global_offset_z
      - .offset:         240
        .size:           2
        .value_kind:     hidden_grid_dims
    .group_segment_fixed_size: 256
    .kernarg_segment_align: 8
    .kernarg_segment_size: 432
    .language:       OpenCL C
    .language_version:
      - 2
      - 0
    .max_flat_workgroup_size: 1024
    .name:           _Z11ccsd_kernelPKdS0_S0_S0_S0_S0_S0_S0_S0_S0_S0_S0_S0_S0_S0_dPdS1_S1_S1_iii
    .private_segment_fixed_size: 0
    .sgpr_count:     46
    .sgpr_spill_count: 0
    .symbol:         _Z11ccsd_kernelPKdS0_S0_S0_S0_S0_S0_S0_S0_S0_S0_S0_S0_S0_S0_dPdS1_S1_S1_iii.kd
    .uniform_work_group_size: 1
    .uses_dynamic_stack: false
    .vgpr_count:     56
    .vgpr_spill_count: 0
    .wavefront_size: 32
amdhsa.target:   amdgcn-amd-amdhsa--gfx1250
amdhsa.version:
  - 1
  - 2
...

	.end_amdgpu_metadata
